;; amdgpu-corpus repo=ROCm/rocm-examples kind=compiled arch=gfx906 opt=O3
	.amdgcn_target "amdgcn-amd-amdhsa--gfx906"
	.amdhsa_code_object_version 6
	.text
	.protected	_Z18hello_world_kernelv ; -- Begin function _Z18hello_world_kernelv
	.globl	_Z18hello_world_kernelv
	.p2align	8
	.type	_Z18hello_world_kernelv,@function
_Z18hello_world_kernelv:                ; @_Z18hello_world_kernelv
; %bb.0:
	s_load_dwordx2 s[2:3], s[4:5], 0x50
	v_mbcnt_lo_u32_b32 v0, -1, 0
	v_mbcnt_hi_u32_b32 v30, -1, v0
	v_readfirstlane_b32 s0, v30
	v_mov_b32_e32 v5, 0
	v_mov_b32_e32 v6, 0
	v_cmp_eq_u32_e64 s[0:1], s0, v30
	s_and_saveexec_b64 s[4:5], s[0:1]
	s_cbranch_execz .LBB0_6
; %bb.1:
	v_mov_b32_e32 v0, 0
	s_waitcnt lgkmcnt(0)
	global_load_dwordx2 v[3:4], v0, s[2:3] offset:24 glc
	s_waitcnt vmcnt(0)
	buffer_wbinvl1_vol
	global_load_dwordx2 v[1:2], v0, s[2:3] offset:40
	global_load_dwordx2 v[5:6], v0, s[2:3]
	s_waitcnt vmcnt(1)
	v_and_b32_e32 v1, v1, v3
	v_and_b32_e32 v2, v2, v4
	v_mul_lo_u32 v2, v2, 24
	v_mul_hi_u32 v7, v1, 24
	v_mul_lo_u32 v1, v1, 24
	v_add_u32_e32 v2, v7, v2
	s_waitcnt vmcnt(0)
	v_add_co_u32_e32 v1, vcc, v5, v1
	v_addc_co_u32_e32 v2, vcc, v6, v2, vcc
	global_load_dwordx2 v[1:2], v[1:2], off glc
	s_waitcnt vmcnt(0)
	global_atomic_cmpswap_x2 v[5:6], v0, v[1:4], s[2:3] offset:24 glc
	s_waitcnt vmcnt(0)
	buffer_wbinvl1_vol
	v_cmp_ne_u64_e32 vcc, v[5:6], v[3:4]
	s_and_saveexec_b64 s[6:7], vcc
	s_cbranch_execz .LBB0_5
; %bb.2:
	s_mov_b64 s[8:9], 0
.LBB0_3:                                ; =>This Inner Loop Header: Depth=1
	s_sleep 1
	global_load_dwordx2 v[1:2], v0, s[2:3] offset:40
	global_load_dwordx2 v[7:8], v0, s[2:3]
	v_mov_b32_e32 v3, v5
	v_mov_b32_e32 v4, v6
	s_waitcnt vmcnt(1)
	v_and_b32_e32 v1, v1, v3
	s_waitcnt vmcnt(0)
	v_mad_u64_u32 v[5:6], s[10:11], v1, 24, v[7:8]
	v_and_b32_e32 v2, v2, v4
	v_mov_b32_e32 v1, v6
	v_mad_u64_u32 v[1:2], s[10:11], v2, 24, v[1:2]
	v_mov_b32_e32 v6, v1
	global_load_dwordx2 v[1:2], v[5:6], off glc
	s_waitcnt vmcnt(0)
	global_atomic_cmpswap_x2 v[5:6], v0, v[1:4], s[2:3] offset:24 glc
	s_waitcnt vmcnt(0)
	buffer_wbinvl1_vol
	v_cmp_eq_u64_e32 vcc, v[5:6], v[3:4]
	s_or_b64 s[8:9], vcc, s[8:9]
	s_andn2_b64 exec, exec, s[8:9]
	s_cbranch_execnz .LBB0_3
; %bb.4:
	s_or_b64 exec, exec, s[8:9]
.LBB0_5:
	s_or_b64 exec, exec, s[6:7]
.LBB0_6:
	s_or_b64 exec, exec, s[4:5]
	v_mov_b32_e32 v4, 0
	s_waitcnt lgkmcnt(0)
	global_load_dwordx2 v[7:8], v4, s[2:3] offset:40
	global_load_dwordx4 v[0:3], v4, s[2:3]
	v_readfirstlane_b32 s5, v6
	v_readfirstlane_b32 s4, v5
	s_mov_b64 s[6:7], exec
	s_waitcnt vmcnt(1)
	v_readfirstlane_b32 s8, v7
	v_readfirstlane_b32 s9, v8
	s_and_b64 s[8:9], s[8:9], s[4:5]
	s_mul_i32 s10, s9, 24
	s_mul_hi_u32 s11, s8, 24
	s_mul_i32 s12, s8, 24
	s_add_i32 s10, s11, s10
	v_mov_b32_e32 v5, s10
	s_waitcnt vmcnt(0)
	v_add_co_u32_e32 v7, vcc, s12, v0
	v_addc_co_u32_e32 v8, vcc, v1, v5, vcc
	s_and_saveexec_b64 s[10:11], s[0:1]
	s_cbranch_execz .LBB0_8
; %bb.7:
	v_mov_b32_e32 v10, s7
	v_mov_b32_e32 v9, s6
	;; [unrolled: 1-line block ×4, first 2 shown]
	global_store_dwordx4 v[7:8], v[9:12], off offset:8
.LBB0_8:
	s_or_b64 exec, exec, s[10:11]
	s_lshl_b64 s[6:7], s[8:9], 12
	v_mov_b32_e32 v5, s7
	v_add_co_u32_e32 v2, vcc, s6, v2
	v_addc_co_u32_e32 v11, vcc, v3, v5, vcc
	v_lshlrev_b32_e32 v29, 6, v30
	s_mov_b32 s8, 0
	v_mov_b32_e32 v3, 33
	v_mov_b32_e32 v5, v4
	;; [unrolled: 1-line block ×3, first 2 shown]
	v_readfirstlane_b32 s6, v2
	v_readfirstlane_b32 s7, v11
	v_add_co_u32_e32 v9, vcc, v2, v29
	s_mov_b32 s9, s8
	s_mov_b32 s10, s8
	;; [unrolled: 1-line block ×3, first 2 shown]
	s_nop 0
	global_store_dwordx4 v29, v[3:6], s[6:7]
	v_mov_b32_e32 v2, s8
	v_addc_co_u32_e32 v10, vcc, 0, v11, vcc
	v_mov_b32_e32 v3, s9
	v_mov_b32_e32 v4, s10
	;; [unrolled: 1-line block ×3, first 2 shown]
	global_store_dwordx4 v29, v[2:5], s[6:7] offset:16
	global_store_dwordx4 v29, v[2:5], s[6:7] offset:32
	;; [unrolled: 1-line block ×3, first 2 shown]
	s_and_saveexec_b64 s[6:7], s[0:1]
	s_cbranch_execz .LBB0_16
; %bb.9:
	v_mov_b32_e32 v6, 0
	global_load_dwordx2 v[13:14], v6, s[2:3] offset:32 glc
	global_load_dwordx2 v[2:3], v6, s[2:3] offset:40
	v_mov_b32_e32 v11, s4
	v_mov_b32_e32 v12, s5
	s_waitcnt vmcnt(0)
	v_and_b32_e32 v2, s4, v2
	v_and_b32_e32 v3, s5, v3
	v_mul_lo_u32 v3, v3, 24
	v_mul_hi_u32 v4, v2, 24
	v_mul_lo_u32 v2, v2, 24
	v_add_u32_e32 v3, v4, v3
	v_add_co_u32_e32 v4, vcc, v0, v2
	v_addc_co_u32_e32 v5, vcc, v1, v3, vcc
	global_store_dwordx2 v[4:5], v[13:14], off
	s_waitcnt vmcnt(0)
	global_atomic_cmpswap_x2 v[2:3], v6, v[11:14], s[2:3] offset:32 glc
	s_waitcnt vmcnt(0)
	v_cmp_ne_u64_e32 vcc, v[2:3], v[13:14]
	s_and_saveexec_b64 s[8:9], vcc
	s_cbranch_execz .LBB0_12
; %bb.10:
	s_mov_b64 s[10:11], 0
.LBB0_11:                               ; =>This Inner Loop Header: Depth=1
	s_sleep 1
	global_store_dwordx2 v[4:5], v[2:3], off
	v_mov_b32_e32 v0, s4
	v_mov_b32_e32 v1, s5
	s_waitcnt vmcnt(0)
	global_atomic_cmpswap_x2 v[0:1], v6, v[0:3], s[2:3] offset:32 glc
	s_waitcnt vmcnt(0)
	v_cmp_eq_u64_e32 vcc, v[0:1], v[2:3]
	v_mov_b32_e32 v3, v1
	s_or_b64 s[10:11], vcc, s[10:11]
	v_mov_b32_e32 v2, v0
	s_andn2_b64 exec, exec, s[10:11]
	s_cbranch_execnz .LBB0_11
.LBB0_12:
	s_or_b64 exec, exec, s[8:9]
	v_mov_b32_e32 v3, 0
	global_load_dwordx2 v[0:1], v3, s[2:3] offset:16
	s_mov_b64 s[8:9], exec
	v_mbcnt_lo_u32_b32 v2, s8, 0
	v_mbcnt_hi_u32_b32 v2, s9, v2
	v_cmp_eq_u32_e32 vcc, 0, v2
	s_and_saveexec_b64 s[10:11], vcc
	s_cbranch_execz .LBB0_14
; %bb.13:
	s_bcnt1_i32_b64 s8, s[8:9]
	v_mov_b32_e32 v2, s8
	s_waitcnt vmcnt(0)
	global_atomic_add_x2 v[0:1], v[2:3], off offset:8
.LBB0_14:
	s_or_b64 exec, exec, s[10:11]
	s_waitcnt vmcnt(0)
	global_load_dwordx2 v[2:3], v[0:1], off offset:16
	s_waitcnt vmcnt(0)
	v_cmp_eq_u64_e32 vcc, 0, v[2:3]
	s_cbranch_vccnz .LBB0_16
; %bb.15:
	global_load_dword v0, v[0:1], off offset:24
	v_mov_b32_e32 v1, 0
	s_waitcnt vmcnt(0)
	v_readfirstlane_b32 s8, v0
	s_and_b32 m0, s8, 0xffffff
	global_store_dwordx2 v[2:3], v[0:1], off
	s_sendmsg sendmsg(MSG_INTERRUPT)
.LBB0_16:
	s_or_b64 exec, exec, s[6:7]
	s_branch .LBB0_20
.LBB0_17:                               ;   in Loop: Header=BB0_20 Depth=1
	s_or_b64 exec, exec, s[6:7]
	v_readfirstlane_b32 s6, v0
	s_cmp_eq_u32 s6, 0
	s_cbranch_scc1 .LBB0_19
; %bb.18:                               ;   in Loop: Header=BB0_20 Depth=1
	s_sleep 1
	s_cbranch_execnz .LBB0_20
	s_branch .LBB0_22
.LBB0_19:
	s_branch .LBB0_22
.LBB0_20:                               ; =>This Inner Loop Header: Depth=1
	v_mov_b32_e32 v0, 1
	s_and_saveexec_b64 s[6:7], s[0:1]
	s_cbranch_execz .LBB0_17
; %bb.21:                               ;   in Loop: Header=BB0_20 Depth=1
	global_load_dword v0, v[7:8], off offset:20 glc
	s_waitcnt vmcnt(0)
	buffer_wbinvl1_vol
	v_and_b32_e32 v0, 1, v0
	s_branch .LBB0_17
.LBB0_22:
	global_load_dwordx2 v[0:1], v[9:10], off
	s_and_saveexec_b64 s[6:7], s[0:1]
	s_cbranch_execz .LBB0_25
; %bb.23:
	v_mov_b32_e32 v8, 0
	global_load_dwordx2 v[2:3], v8, s[2:3] offset:40
	global_load_dwordx2 v[11:12], v8, s[2:3] offset:24 glc
	global_load_dwordx2 v[4:5], v8, s[2:3]
	s_waitcnt vmcnt(2)
	v_readfirstlane_b32 s8, v2
	v_readfirstlane_b32 s9, v3
	s_add_u32 s10, s8, 1
	s_addc_u32 s11, s9, 0
	s_add_u32 s0, s10, s4
	s_addc_u32 s1, s11, s5
	s_cmp_eq_u64 s[0:1], 0
	s_cselect_b32 s1, s11, s1
	s_cselect_b32 s0, s10, s0
	s_and_b64 s[4:5], s[0:1], s[8:9]
	s_mul_i32 s5, s5, 24
	s_mul_hi_u32 s8, s4, 24
	s_mul_i32 s4, s4, 24
	s_add_i32 s5, s8, s5
	v_mov_b32_e32 v2, s5
	s_waitcnt vmcnt(0)
	v_add_co_u32_e32 v6, vcc, s4, v4
	v_addc_co_u32_e32 v7, vcc, v5, v2, vcc
	v_mov_b32_e32 v9, s0
	global_store_dwordx2 v[6:7], v[11:12], off
	v_mov_b32_e32 v10, s1
	s_waitcnt vmcnt(0)
	global_atomic_cmpswap_x2 v[4:5], v8, v[9:12], s[2:3] offset:24 glc
	s_mov_b64 s[4:5], 0
	s_waitcnt vmcnt(0)
	v_cmp_ne_u64_e32 vcc, v[4:5], v[11:12]
	s_and_b64 exec, exec, vcc
	s_cbranch_execz .LBB0_25
.LBB0_24:                               ; =>This Inner Loop Header: Depth=1
	s_sleep 1
	global_store_dwordx2 v[6:7], v[4:5], off
	v_mov_b32_e32 v2, s0
	v_mov_b32_e32 v3, s1
	s_waitcnt vmcnt(0)
	global_atomic_cmpswap_x2 v[2:3], v8, v[2:5], s[2:3] offset:24 glc
	s_waitcnt vmcnt(0)
	v_cmp_eq_u64_e32 vcc, v[2:3], v[4:5]
	v_mov_b32_e32 v5, v3
	s_or_b64 s[4:5], vcc, s[4:5]
	v_mov_b32_e32 v4, v2
	s_andn2_b64 exec, exec, s[4:5]
	s_cbranch_execnz .LBB0_24
.LBB0_25:
	s_or_b64 exec, exec, s[6:7]
	s_getpc_b64 s[4:5]
	s_add_u32 s4, s4, .str@rel32@lo+4
	s_addc_u32 s5, s5, .str@rel32@hi+12
	s_cmp_lg_u64 s[4:5], 0
	s_cbranch_scc0 .LBB0_111
; %bb.26:
	s_waitcnt vmcnt(0)
	v_and_b32_e32 v6, -3, v0
	v_mov_b32_e32 v7, v1
	s_mov_b64 s[6:7], 15
	v_mov_b32_e32 v26, 0
	v_mov_b32_e32 v4, 2
	;; [unrolled: 1-line block ×3, first 2 shown]
	s_branch .LBB0_28
.LBB0_27:                               ;   in Loop: Header=BB0_28 Depth=1
	s_or_b64 exec, exec, s[12:13]
	s_sub_u32 s6, s6, s8
	s_subb_u32 s7, s7, s9
	s_add_u32 s4, s4, s8
	s_addc_u32 s5, s5, s9
	s_cmp_lg_u64 s[6:7], 0
	s_cbranch_scc0 .LBB0_110
.LBB0_28:                               ; =>This Loop Header: Depth=1
                                        ;     Child Loop BB0_31 Depth 2
                                        ;     Child Loop BB0_39 Depth 2
	;; [unrolled: 1-line block ×11, first 2 shown]
	v_cmp_lt_u64_e64 s[0:1], s[6:7], 56
	v_cmp_gt_u64_e64 s[10:11], s[6:7], 7
	s_and_b64 s[0:1], s[0:1], exec
	s_cselect_b32 s9, s7, 0
	s_cselect_b32 s8, s6, 56
	s_add_u32 s0, s4, 8
	s_addc_u32 s1, s5, 0
	s_and_b64 vcc, exec, s[10:11]
	s_cbranch_vccnz .LBB0_32
; %bb.29:                               ;   in Loop: Header=BB0_28 Depth=1
	s_cmp_eq_u64 s[6:7], 0
	s_cbranch_scc1 .LBB0_33
; %bb.30:                               ;   in Loop: Header=BB0_28 Depth=1
	s_waitcnt vmcnt(0)
	v_mov_b32_e32 v8, 0
	s_lshl_b64 s[0:1], s[8:9], 3
	s_mov_b64 s[10:11], 0
	v_mov_b32_e32 v9, 0
	s_mov_b64 s[12:13], s[4:5]
.LBB0_31:                               ;   Parent Loop BB0_28 Depth=1
                                        ; =>  This Inner Loop Header: Depth=2
	global_load_ubyte v2, v26, s[12:13]
	s_waitcnt vmcnt(0)
	v_and_b32_e32 v25, 0xffff, v2
	v_lshlrev_b64 v[2:3], s10, v[25:26]
	s_add_u32 s10, s10, 8
	s_addc_u32 s11, s11, 0
	s_add_u32 s12, s12, 1
	s_addc_u32 s13, s13, 0
	v_or_b32_e32 v8, v2, v8
	s_cmp_lg_u32 s0, s10
	v_or_b32_e32 v9, v3, v9
	s_cbranch_scc1 .LBB0_31
	s_branch .LBB0_34
.LBB0_32:                               ;   in Loop: Header=BB0_28 Depth=1
	s_mov_b32 s14, 0
	s_branch .LBB0_35
.LBB0_33:                               ;   in Loop: Header=BB0_28 Depth=1
	s_waitcnt vmcnt(0)
	v_mov_b32_e32 v8, 0
	v_mov_b32_e32 v9, 0
.LBB0_34:                               ;   in Loop: Header=BB0_28 Depth=1
	s_mov_b64 s[0:1], s[4:5]
	s_mov_b32 s14, 0
	s_cbranch_execnz .LBB0_36
.LBB0_35:                               ;   in Loop: Header=BB0_28 Depth=1
	global_load_dwordx2 v[8:9], v26, s[4:5]
	s_add_i32 s14, s8, -8
.LBB0_36:                               ;   in Loop: Header=BB0_28 Depth=1
	s_add_u32 s10, s0, 8
	s_addc_u32 s11, s1, 0
	s_cmp_gt_u32 s14, 7
	s_cbranch_scc1 .LBB0_40
; %bb.37:                               ;   in Loop: Header=BB0_28 Depth=1
	s_cmp_eq_u32 s14, 0
	s_cbranch_scc1 .LBB0_41
; %bb.38:                               ;   in Loop: Header=BB0_28 Depth=1
	v_mov_b32_e32 v10, 0
	s_mov_b64 s[10:11], 0
	v_mov_b32_e32 v11, 0
	s_mov_b64 s[12:13], 0
.LBB0_39:                               ;   Parent Loop BB0_28 Depth=1
                                        ; =>  This Inner Loop Header: Depth=2
	s_add_u32 s16, s0, s12
	s_addc_u32 s17, s1, s13
	global_load_ubyte v2, v26, s[16:17]
	s_add_u32 s12, s12, 1
	s_addc_u32 s13, s13, 0
	s_waitcnt vmcnt(0)
	v_and_b32_e32 v25, 0xffff, v2
	v_lshlrev_b64 v[2:3], s10, v[25:26]
	s_add_u32 s10, s10, 8
	s_addc_u32 s11, s11, 0
	v_or_b32_e32 v10, v2, v10
	s_cmp_lg_u32 s14, s12
	v_or_b32_e32 v11, v3, v11
	s_cbranch_scc1 .LBB0_39
	s_branch .LBB0_42
.LBB0_40:                               ;   in Loop: Header=BB0_28 Depth=1
                                        ; implicit-def: $vgpr10_vgpr11
	s_mov_b32 s15, 0
	s_branch .LBB0_43
.LBB0_41:                               ;   in Loop: Header=BB0_28 Depth=1
	v_mov_b32_e32 v10, 0
	v_mov_b32_e32 v11, 0
.LBB0_42:                               ;   in Loop: Header=BB0_28 Depth=1
	s_mov_b64 s[10:11], s[0:1]
	s_mov_b32 s15, 0
	s_cbranch_execnz .LBB0_44
.LBB0_43:                               ;   in Loop: Header=BB0_28 Depth=1
	global_load_dwordx2 v[10:11], v26, s[0:1]
	s_add_i32 s15, s14, -8
.LBB0_44:                               ;   in Loop: Header=BB0_28 Depth=1
	s_add_u32 s0, s10, 8
	s_addc_u32 s1, s11, 0
	s_cmp_gt_u32 s15, 7
	s_cbranch_scc1 .LBB0_48
; %bb.45:                               ;   in Loop: Header=BB0_28 Depth=1
	s_cmp_eq_u32 s15, 0
	s_cbranch_scc1 .LBB0_49
; %bb.46:                               ;   in Loop: Header=BB0_28 Depth=1
	v_mov_b32_e32 v12, 0
	s_mov_b64 s[0:1], 0
	v_mov_b32_e32 v13, 0
	s_mov_b64 s[12:13], 0
.LBB0_47:                               ;   Parent Loop BB0_28 Depth=1
                                        ; =>  This Inner Loop Header: Depth=2
	s_add_u32 s16, s10, s12
	s_addc_u32 s17, s11, s13
	global_load_ubyte v2, v26, s[16:17]
	s_add_u32 s12, s12, 1
	s_addc_u32 s13, s13, 0
	s_waitcnt vmcnt(0)
	v_and_b32_e32 v25, 0xffff, v2
	v_lshlrev_b64 v[2:3], s0, v[25:26]
	s_add_u32 s0, s0, 8
	s_addc_u32 s1, s1, 0
	v_or_b32_e32 v12, v2, v12
	s_cmp_lg_u32 s15, s12
	v_or_b32_e32 v13, v3, v13
	s_cbranch_scc1 .LBB0_47
	s_branch .LBB0_50
.LBB0_48:                               ;   in Loop: Header=BB0_28 Depth=1
	s_mov_b32 s14, 0
	s_branch .LBB0_51
.LBB0_49:                               ;   in Loop: Header=BB0_28 Depth=1
	v_mov_b32_e32 v12, 0
	v_mov_b32_e32 v13, 0
.LBB0_50:                               ;   in Loop: Header=BB0_28 Depth=1
	s_mov_b64 s[0:1], s[10:11]
	s_mov_b32 s14, 0
	s_cbranch_execnz .LBB0_52
.LBB0_51:                               ;   in Loop: Header=BB0_28 Depth=1
	global_load_dwordx2 v[12:13], v26, s[10:11]
	s_add_i32 s14, s15, -8
.LBB0_52:                               ;   in Loop: Header=BB0_28 Depth=1
	s_add_u32 s10, s0, 8
	s_addc_u32 s11, s1, 0
	s_cmp_gt_u32 s14, 7
	s_cbranch_scc1 .LBB0_56
; %bb.53:                               ;   in Loop: Header=BB0_28 Depth=1
	s_cmp_eq_u32 s14, 0
	s_cbranch_scc1 .LBB0_57
; %bb.54:                               ;   in Loop: Header=BB0_28 Depth=1
	v_mov_b32_e32 v14, 0
	s_mov_b64 s[10:11], 0
	v_mov_b32_e32 v15, 0
	s_mov_b64 s[12:13], 0
.LBB0_55:                               ;   Parent Loop BB0_28 Depth=1
                                        ; =>  This Inner Loop Header: Depth=2
	s_add_u32 s16, s0, s12
	s_addc_u32 s17, s1, s13
	global_load_ubyte v2, v26, s[16:17]
	s_add_u32 s12, s12, 1
	s_addc_u32 s13, s13, 0
	s_waitcnt vmcnt(0)
	v_and_b32_e32 v25, 0xffff, v2
	v_lshlrev_b64 v[2:3], s10, v[25:26]
	s_add_u32 s10, s10, 8
	s_addc_u32 s11, s11, 0
	v_or_b32_e32 v14, v2, v14
	s_cmp_lg_u32 s14, s12
	v_or_b32_e32 v15, v3, v15
	s_cbranch_scc1 .LBB0_55
	s_branch .LBB0_58
.LBB0_56:                               ;   in Loop: Header=BB0_28 Depth=1
                                        ; implicit-def: $vgpr14_vgpr15
	s_mov_b32 s15, 0
	s_branch .LBB0_59
.LBB0_57:                               ;   in Loop: Header=BB0_28 Depth=1
	v_mov_b32_e32 v14, 0
	v_mov_b32_e32 v15, 0
.LBB0_58:                               ;   in Loop: Header=BB0_28 Depth=1
	s_mov_b64 s[10:11], s[0:1]
	s_mov_b32 s15, 0
	s_cbranch_execnz .LBB0_60
.LBB0_59:                               ;   in Loop: Header=BB0_28 Depth=1
	global_load_dwordx2 v[14:15], v26, s[0:1]
	s_add_i32 s15, s14, -8
.LBB0_60:                               ;   in Loop: Header=BB0_28 Depth=1
	s_add_u32 s0, s10, 8
	s_addc_u32 s1, s11, 0
	s_cmp_gt_u32 s15, 7
	s_cbranch_scc1 .LBB0_64
; %bb.61:                               ;   in Loop: Header=BB0_28 Depth=1
	s_cmp_eq_u32 s15, 0
	s_cbranch_scc1 .LBB0_65
; %bb.62:                               ;   in Loop: Header=BB0_28 Depth=1
	v_mov_b32_e32 v16, 0
	s_mov_b64 s[0:1], 0
	v_mov_b32_e32 v17, 0
	s_mov_b64 s[12:13], 0
.LBB0_63:                               ;   Parent Loop BB0_28 Depth=1
                                        ; =>  This Inner Loop Header: Depth=2
	s_add_u32 s16, s10, s12
	s_addc_u32 s17, s11, s13
	global_load_ubyte v2, v26, s[16:17]
	s_add_u32 s12, s12, 1
	s_addc_u32 s13, s13, 0
	s_waitcnt vmcnt(0)
	v_and_b32_e32 v25, 0xffff, v2
	v_lshlrev_b64 v[2:3], s0, v[25:26]
	s_add_u32 s0, s0, 8
	s_addc_u32 s1, s1, 0
	v_or_b32_e32 v16, v2, v16
	s_cmp_lg_u32 s15, s12
	v_or_b32_e32 v17, v3, v17
	s_cbranch_scc1 .LBB0_63
	s_branch .LBB0_66
.LBB0_64:                               ;   in Loop: Header=BB0_28 Depth=1
	s_mov_b32 s14, 0
	s_branch .LBB0_67
.LBB0_65:                               ;   in Loop: Header=BB0_28 Depth=1
	v_mov_b32_e32 v16, 0
	v_mov_b32_e32 v17, 0
.LBB0_66:                               ;   in Loop: Header=BB0_28 Depth=1
	s_mov_b64 s[0:1], s[10:11]
	s_mov_b32 s14, 0
	s_cbranch_execnz .LBB0_68
.LBB0_67:                               ;   in Loop: Header=BB0_28 Depth=1
	global_load_dwordx2 v[16:17], v26, s[10:11]
	s_add_i32 s14, s15, -8
.LBB0_68:                               ;   in Loop: Header=BB0_28 Depth=1
	s_add_u32 s10, s0, 8
	s_addc_u32 s11, s1, 0
	s_cmp_gt_u32 s14, 7
	s_cbranch_scc1 .LBB0_72
; %bb.69:                               ;   in Loop: Header=BB0_28 Depth=1
	s_cmp_eq_u32 s14, 0
	s_cbranch_scc1 .LBB0_73
; %bb.70:                               ;   in Loop: Header=BB0_28 Depth=1
	v_mov_b32_e32 v18, 0
	s_mov_b64 s[10:11], 0
	v_mov_b32_e32 v19, 0
	s_mov_b64 s[12:13], 0
.LBB0_71:                               ;   Parent Loop BB0_28 Depth=1
                                        ; =>  This Inner Loop Header: Depth=2
	s_add_u32 s16, s0, s12
	s_addc_u32 s17, s1, s13
	global_load_ubyte v2, v26, s[16:17]
	s_add_u32 s12, s12, 1
	s_addc_u32 s13, s13, 0
	s_waitcnt vmcnt(0)
	v_and_b32_e32 v25, 0xffff, v2
	v_lshlrev_b64 v[2:3], s10, v[25:26]
	s_add_u32 s10, s10, 8
	s_addc_u32 s11, s11, 0
	v_or_b32_e32 v18, v2, v18
	s_cmp_lg_u32 s14, s12
	v_or_b32_e32 v19, v3, v19
	s_cbranch_scc1 .LBB0_71
	s_branch .LBB0_74
.LBB0_72:                               ;   in Loop: Header=BB0_28 Depth=1
                                        ; implicit-def: $vgpr18_vgpr19
	s_mov_b32 s15, 0
	s_branch .LBB0_75
.LBB0_73:                               ;   in Loop: Header=BB0_28 Depth=1
	v_mov_b32_e32 v18, 0
	v_mov_b32_e32 v19, 0
.LBB0_74:                               ;   in Loop: Header=BB0_28 Depth=1
	s_mov_b64 s[10:11], s[0:1]
	s_mov_b32 s15, 0
	s_cbranch_execnz .LBB0_76
.LBB0_75:                               ;   in Loop: Header=BB0_28 Depth=1
	global_load_dwordx2 v[18:19], v26, s[0:1]
	s_add_i32 s15, s14, -8
.LBB0_76:                               ;   in Loop: Header=BB0_28 Depth=1
	s_cmp_gt_u32 s15, 7
	s_cbranch_scc1 .LBB0_80
; %bb.77:                               ;   in Loop: Header=BB0_28 Depth=1
	s_cmp_eq_u32 s15, 0
	s_cbranch_scc1 .LBB0_81
; %bb.78:                               ;   in Loop: Header=BB0_28 Depth=1
	v_mov_b32_e32 v20, 0
	s_mov_b64 s[0:1], 0
	v_mov_b32_e32 v21, 0
	s_mov_b64 s[12:13], s[10:11]
.LBB0_79:                               ;   Parent Loop BB0_28 Depth=1
                                        ; =>  This Inner Loop Header: Depth=2
	global_load_ubyte v2, v26, s[12:13]
	s_add_i32 s15, s15, -1
	s_waitcnt vmcnt(0)
	v_and_b32_e32 v25, 0xffff, v2
	v_lshlrev_b64 v[2:3], s0, v[25:26]
	s_add_u32 s0, s0, 8
	s_addc_u32 s1, s1, 0
	s_add_u32 s12, s12, 1
	s_addc_u32 s13, s13, 0
	v_or_b32_e32 v20, v2, v20
	s_cmp_lg_u32 s15, 0
	v_or_b32_e32 v21, v3, v21
	s_cbranch_scc1 .LBB0_79
	s_branch .LBB0_82
.LBB0_80:                               ;   in Loop: Header=BB0_28 Depth=1
	s_branch .LBB0_83
.LBB0_81:                               ;   in Loop: Header=BB0_28 Depth=1
	v_mov_b32_e32 v20, 0
	v_mov_b32_e32 v21, 0
.LBB0_82:                               ;   in Loop: Header=BB0_28 Depth=1
	s_cbranch_execnz .LBB0_84
.LBB0_83:                               ;   in Loop: Header=BB0_28 Depth=1
	global_load_dwordx2 v[20:21], v26, s[10:11]
.LBB0_84:                               ;   in Loop: Header=BB0_28 Depth=1
	v_readfirstlane_b32 s0, v30
	v_mov_b32_e32 v2, 0
	v_mov_b32_e32 v3, 0
	v_cmp_eq_u32_e64 s[0:1], s0, v30
	s_and_saveexec_b64 s[10:11], s[0:1]
	s_cbranch_execz .LBB0_90
; %bb.85:                               ;   in Loop: Header=BB0_28 Depth=1
	global_load_dwordx2 v[24:25], v26, s[2:3] offset:24 glc
	s_waitcnt vmcnt(0)
	buffer_wbinvl1_vol
	global_load_dwordx2 v[2:3], v26, s[2:3] offset:40
	global_load_dwordx2 v[22:23], v26, s[2:3]
	s_waitcnt vmcnt(1)
	v_and_b32_e32 v2, v2, v24
	v_and_b32_e32 v3, v3, v25
	v_mul_lo_u32 v3, v3, 24
	v_mul_hi_u32 v27, v2, 24
	v_mul_lo_u32 v2, v2, 24
	v_add_u32_e32 v3, v27, v3
	s_waitcnt vmcnt(0)
	v_add_co_u32_e32 v2, vcc, v22, v2
	v_addc_co_u32_e32 v3, vcc, v23, v3, vcc
	global_load_dwordx2 v[22:23], v[2:3], off glc
	s_waitcnt vmcnt(0)
	global_atomic_cmpswap_x2 v[2:3], v26, v[22:25], s[2:3] offset:24 glc
	s_waitcnt vmcnt(0)
	buffer_wbinvl1_vol
	v_cmp_ne_u64_e32 vcc, v[2:3], v[24:25]
	s_and_saveexec_b64 s[12:13], vcc
	s_cbranch_execz .LBB0_89
; %bb.86:                               ;   in Loop: Header=BB0_28 Depth=1
	s_mov_b64 s[14:15], 0
.LBB0_87:                               ;   Parent Loop BB0_28 Depth=1
                                        ; =>  This Inner Loop Header: Depth=2
	s_sleep 1
	global_load_dwordx2 v[22:23], v26, s[2:3] offset:40
	global_load_dwordx2 v[27:28], v26, s[2:3]
	v_mov_b32_e32 v25, v3
	v_mov_b32_e32 v24, v2
	s_waitcnt vmcnt(1)
	v_and_b32_e32 v2, v22, v24
	s_waitcnt vmcnt(0)
	v_mad_u64_u32 v[2:3], s[16:17], v2, 24, v[27:28]
	v_and_b32_e32 v22, v23, v25
	v_mad_u64_u32 v[22:23], s[16:17], v22, 24, v[3:4]
	v_mov_b32_e32 v3, v22
	global_load_dwordx2 v[22:23], v[2:3], off glc
	s_waitcnt vmcnt(0)
	global_atomic_cmpswap_x2 v[2:3], v26, v[22:25], s[2:3] offset:24 glc
	s_waitcnt vmcnt(0)
	buffer_wbinvl1_vol
	v_cmp_eq_u64_e32 vcc, v[2:3], v[24:25]
	s_or_b64 s[14:15], vcc, s[14:15]
	s_andn2_b64 exec, exec, s[14:15]
	s_cbranch_execnz .LBB0_87
; %bb.88:                               ;   in Loop: Header=BB0_28 Depth=1
	s_or_b64 exec, exec, s[14:15]
.LBB0_89:                               ;   in Loop: Header=BB0_28 Depth=1
	s_or_b64 exec, exec, s[12:13]
.LBB0_90:                               ;   in Loop: Header=BB0_28 Depth=1
	s_or_b64 exec, exec, s[10:11]
	global_load_dwordx2 v[27:28], v26, s[2:3] offset:40
	global_load_dwordx4 v[22:25], v26, s[2:3]
	v_readfirstlane_b32 s11, v3
	v_readfirstlane_b32 s10, v2
	s_mov_b64 s[12:13], exec
	s_waitcnt vmcnt(1)
	v_readfirstlane_b32 s14, v27
	v_readfirstlane_b32 s15, v28
	s_and_b64 s[14:15], s[14:15], s[10:11]
	s_mul_i32 s16, s15, 24
	s_mul_hi_u32 s17, s14, 24
	s_mul_i32 s18, s14, 24
	s_add_i32 s16, s17, s16
	v_mov_b32_e32 v2, s16
	s_waitcnt vmcnt(0)
	v_add_co_u32_e32 v27, vcc, s18, v22
	v_addc_co_u32_e32 v28, vcc, v23, v2, vcc
	s_and_saveexec_b64 s[16:17], s[0:1]
	s_cbranch_execz .LBB0_92
; %bb.91:                               ;   in Loop: Header=BB0_28 Depth=1
	v_mov_b32_e32 v2, s12
	v_mov_b32_e32 v3, s13
	global_store_dwordx4 v[27:28], v[2:5], off offset:8
.LBB0_92:                               ;   in Loop: Header=BB0_28 Depth=1
	s_or_b64 exec, exec, s[16:17]
	s_lshl_b64 s[12:13], s[14:15], 12
	v_cmp_gt_u64_e64 s[14:15], s[6:7], 56
	v_mov_b32_e32 v2, s13
	v_add_co_u32_e32 v24, vcc, s12, v24
	s_and_b64 s[12:13], s[14:15], exec
	s_cselect_b32 s12, 0, 2
	s_lshl_b32 s13, s8, 2
	v_addc_co_u32_e32 v31, vcc, v25, v2, vcc
	s_add_i32 s13, s13, 28
	v_and_b32_e32 v2, 0xffffff1f, v6
	s_and_b32 s13, s13, 0x1e0
	v_or_b32_e32 v2, s12, v2
	v_or_b32_e32 v6, s13, v2
	v_readfirstlane_b32 s12, v24
	v_readfirstlane_b32 s13, v31
	s_nop 4
	global_store_dwordx4 v29, v[6:9], s[12:13]
	global_store_dwordx4 v29, v[10:13], s[12:13] offset:16
	global_store_dwordx4 v29, v[14:17], s[12:13] offset:32
	;; [unrolled: 1-line block ×3, first 2 shown]
	s_and_saveexec_b64 s[12:13], s[0:1]
	s_cbranch_execz .LBB0_100
; %bb.93:                               ;   in Loop: Header=BB0_28 Depth=1
	global_load_dwordx2 v[10:11], v26, s[2:3] offset:32 glc
	global_load_dwordx2 v[2:3], v26, s[2:3] offset:40
	v_mov_b32_e32 v8, s10
	v_mov_b32_e32 v9, s11
	s_waitcnt vmcnt(0)
	v_readfirstlane_b32 s14, v2
	v_readfirstlane_b32 s15, v3
	s_and_b64 s[14:15], s[14:15], s[10:11]
	s_mul_i32 s15, s15, 24
	s_mul_hi_u32 s16, s14, 24
	s_mul_i32 s14, s14, 24
	s_add_i32 s15, s16, s15
	v_mov_b32_e32 v3, s15
	v_add_co_u32_e32 v2, vcc, s14, v22
	v_addc_co_u32_e32 v3, vcc, v23, v3, vcc
	global_store_dwordx2 v[2:3], v[10:11], off
	s_waitcnt vmcnt(0)
	global_atomic_cmpswap_x2 v[8:9], v26, v[8:11], s[2:3] offset:32 glc
	s_waitcnt vmcnt(0)
	v_cmp_ne_u64_e32 vcc, v[8:9], v[10:11]
	s_and_saveexec_b64 s[14:15], vcc
	s_cbranch_execz .LBB0_96
; %bb.94:                               ;   in Loop: Header=BB0_28 Depth=1
	s_mov_b64 s[16:17], 0
.LBB0_95:                               ;   Parent Loop BB0_28 Depth=1
                                        ; =>  This Inner Loop Header: Depth=2
	s_sleep 1
	global_store_dwordx2 v[2:3], v[8:9], off
	v_mov_b32_e32 v6, s10
	v_mov_b32_e32 v7, s11
	s_waitcnt vmcnt(0)
	global_atomic_cmpswap_x2 v[6:7], v26, v[6:9], s[2:3] offset:32 glc
	s_waitcnt vmcnt(0)
	v_cmp_eq_u64_e32 vcc, v[6:7], v[8:9]
	v_mov_b32_e32 v9, v7
	s_or_b64 s[16:17], vcc, s[16:17]
	v_mov_b32_e32 v8, v6
	s_andn2_b64 exec, exec, s[16:17]
	s_cbranch_execnz .LBB0_95
.LBB0_96:                               ;   in Loop: Header=BB0_28 Depth=1
	s_or_b64 exec, exec, s[14:15]
	global_load_dwordx2 v[2:3], v26, s[2:3] offset:16
	s_mov_b64 s[16:17], exec
	v_mbcnt_lo_u32_b32 v6, s16, 0
	v_mbcnt_hi_u32_b32 v6, s17, v6
	v_cmp_eq_u32_e32 vcc, 0, v6
	s_and_saveexec_b64 s[14:15], vcc
	s_cbranch_execz .LBB0_98
; %bb.97:                               ;   in Loop: Header=BB0_28 Depth=1
	s_bcnt1_i32_b64 s16, s[16:17]
	v_mov_b32_e32 v25, s16
	s_waitcnt vmcnt(0)
	global_atomic_add_x2 v[2:3], v[25:26], off offset:8
.LBB0_98:                               ;   in Loop: Header=BB0_28 Depth=1
	s_or_b64 exec, exec, s[14:15]
	s_waitcnt vmcnt(0)
	global_load_dwordx2 v[6:7], v[2:3], off offset:16
	s_waitcnt vmcnt(0)
	v_cmp_eq_u64_e32 vcc, 0, v[6:7]
	s_cbranch_vccnz .LBB0_100
; %bb.99:                               ;   in Loop: Header=BB0_28 Depth=1
	global_load_dword v25, v[2:3], off offset:24
	s_waitcnt vmcnt(0)
	v_readfirstlane_b32 s14, v25
	s_and_b32 m0, s14, 0xffffff
	global_store_dwordx2 v[6:7], v[25:26], off
	s_sendmsg sendmsg(MSG_INTERRUPT)
.LBB0_100:                              ;   in Loop: Header=BB0_28 Depth=1
	s_or_b64 exec, exec, s[12:13]
	v_add_co_u32_e32 v2, vcc, v24, v29
	v_addc_co_u32_e32 v3, vcc, 0, v31, vcc
	s_branch .LBB0_104
.LBB0_101:                              ;   in Loop: Header=BB0_104 Depth=2
	s_or_b64 exec, exec, s[12:13]
	v_readfirstlane_b32 s12, v6
	s_cmp_eq_u32 s12, 0
	s_cbranch_scc1 .LBB0_103
; %bb.102:                              ;   in Loop: Header=BB0_104 Depth=2
	s_sleep 1
	s_cbranch_execnz .LBB0_104
	s_branch .LBB0_106
.LBB0_103:                              ;   in Loop: Header=BB0_28 Depth=1
	s_branch .LBB0_106
.LBB0_104:                              ;   Parent Loop BB0_28 Depth=1
                                        ; =>  This Inner Loop Header: Depth=2
	v_mov_b32_e32 v6, 1
	s_and_saveexec_b64 s[12:13], s[0:1]
	s_cbranch_execz .LBB0_101
; %bb.105:                              ;   in Loop: Header=BB0_104 Depth=2
	global_load_dword v6, v[27:28], off offset:20 glc
	s_waitcnt vmcnt(0)
	buffer_wbinvl1_vol
	v_and_b32_e32 v6, 1, v6
	s_branch .LBB0_101
.LBB0_106:                              ;   in Loop: Header=BB0_28 Depth=1
	global_load_dwordx4 v[6:9], v[2:3], off
	s_and_saveexec_b64 s[12:13], s[0:1]
	s_cbranch_execz .LBB0_27
; %bb.107:                              ;   in Loop: Header=BB0_28 Depth=1
	global_load_dwordx2 v[2:3], v26, s[2:3] offset:40
	global_load_dwordx2 v[12:13], v26, s[2:3] offset:24 glc
	global_load_dwordx2 v[8:9], v26, s[2:3]
	s_waitcnt vmcnt(2)
	v_readfirstlane_b32 s14, v2
	v_readfirstlane_b32 s15, v3
	s_add_u32 s16, s14, 1
	s_addc_u32 s17, s15, 0
	s_add_u32 s0, s16, s10
	s_addc_u32 s1, s17, s11
	s_cmp_eq_u64 s[0:1], 0
	s_cselect_b32 s1, s17, s1
	s_cselect_b32 s0, s16, s0
	s_and_b64 s[10:11], s[0:1], s[14:15]
	s_mul_i32 s11, s11, 24
	s_mul_hi_u32 s14, s10, 24
	s_mul_i32 s10, s10, 24
	s_add_i32 s11, s14, s11
	v_mov_b32_e32 v3, s11
	s_waitcnt vmcnt(0)
	v_add_co_u32_e32 v2, vcc, s10, v8
	v_addc_co_u32_e32 v3, vcc, v9, v3, vcc
	v_mov_b32_e32 v10, s0
	global_store_dwordx2 v[2:3], v[12:13], off
	v_mov_b32_e32 v11, s1
	s_waitcnt vmcnt(0)
	global_atomic_cmpswap_x2 v[10:11], v26, v[10:13], s[2:3] offset:24 glc
	s_waitcnt vmcnt(0)
	v_cmp_ne_u64_e32 vcc, v[10:11], v[12:13]
	s_and_b64 exec, exec, vcc
	s_cbranch_execz .LBB0_27
; %bb.108:                              ;   in Loop: Header=BB0_28 Depth=1
	s_mov_b64 s[10:11], 0
.LBB0_109:                              ;   Parent Loop BB0_28 Depth=1
                                        ; =>  This Inner Loop Header: Depth=2
	s_sleep 1
	global_store_dwordx2 v[2:3], v[10:11], off
	v_mov_b32_e32 v8, s0
	v_mov_b32_e32 v9, s1
	s_waitcnt vmcnt(0)
	global_atomic_cmpswap_x2 v[8:9], v26, v[8:11], s[2:3] offset:24 glc
	s_waitcnt vmcnt(0)
	v_cmp_eq_u64_e32 vcc, v[8:9], v[10:11]
	v_mov_b32_e32 v11, v9
	s_or_b64 s[10:11], vcc, s[10:11]
	v_mov_b32_e32 v10, v8
	s_andn2_b64 exec, exec, s[10:11]
	s_cbranch_execnz .LBB0_109
	s_branch .LBB0_27
.LBB0_110:
	s_branch .LBB0_137
.LBB0_111:
	s_cbranch_execz .LBB0_137
; %bb.112:
	v_readfirstlane_b32 s0, v30
	s_waitcnt vmcnt(0)
	v_mov_b32_e32 v8, 0
	v_mov_b32_e32 v9, 0
	v_cmp_eq_u32_e64 s[0:1], s0, v30
	s_and_saveexec_b64 s[4:5], s[0:1]
	s_cbranch_execz .LBB0_118
; %bb.113:
	v_mov_b32_e32 v2, 0
	global_load_dwordx2 v[5:6], v2, s[2:3] offset:24 glc
	s_waitcnt vmcnt(0)
	buffer_wbinvl1_vol
	global_load_dwordx2 v[3:4], v2, s[2:3] offset:40
	global_load_dwordx2 v[7:8], v2, s[2:3]
	s_waitcnt vmcnt(1)
	v_and_b32_e32 v3, v3, v5
	v_and_b32_e32 v4, v4, v6
	v_mul_lo_u32 v4, v4, 24
	v_mul_hi_u32 v9, v3, 24
	v_mul_lo_u32 v3, v3, 24
	v_add_u32_e32 v4, v9, v4
	s_waitcnt vmcnt(0)
	v_add_co_u32_e32 v3, vcc, v7, v3
	v_addc_co_u32_e32 v4, vcc, v8, v4, vcc
	global_load_dwordx2 v[3:4], v[3:4], off glc
	s_waitcnt vmcnt(0)
	global_atomic_cmpswap_x2 v[8:9], v2, v[3:6], s[2:3] offset:24 glc
	s_waitcnt vmcnt(0)
	buffer_wbinvl1_vol
	v_cmp_ne_u64_e32 vcc, v[8:9], v[5:6]
	s_and_saveexec_b64 s[6:7], vcc
	s_cbranch_execz .LBB0_117
; %bb.114:
	s_mov_b64 s[8:9], 0
.LBB0_115:                              ; =>This Inner Loop Header: Depth=1
	s_sleep 1
	global_load_dwordx2 v[3:4], v2, s[2:3] offset:40
	global_load_dwordx2 v[10:11], v2, s[2:3]
	v_mov_b32_e32 v5, v8
	v_mov_b32_e32 v6, v9
	s_waitcnt vmcnt(1)
	v_and_b32_e32 v3, v3, v5
	s_waitcnt vmcnt(0)
	v_mad_u64_u32 v[7:8], s[10:11], v3, 24, v[10:11]
	v_and_b32_e32 v4, v4, v6
	v_mov_b32_e32 v3, v8
	v_mad_u64_u32 v[3:4], s[10:11], v4, 24, v[3:4]
	v_mov_b32_e32 v8, v3
	global_load_dwordx2 v[3:4], v[7:8], off glc
	s_waitcnt vmcnt(0)
	global_atomic_cmpswap_x2 v[8:9], v2, v[3:6], s[2:3] offset:24 glc
	s_waitcnt vmcnt(0)
	buffer_wbinvl1_vol
	v_cmp_eq_u64_e32 vcc, v[8:9], v[5:6]
	s_or_b64 s[8:9], vcc, s[8:9]
	s_andn2_b64 exec, exec, s[8:9]
	s_cbranch_execnz .LBB0_115
; %bb.116:
	s_or_b64 exec, exec, s[8:9]
.LBB0_117:
	s_or_b64 exec, exec, s[6:7]
.LBB0_118:
	s_or_b64 exec, exec, s[4:5]
	v_mov_b32_e32 v2, 0
	global_load_dwordx2 v[10:11], v2, s[2:3] offset:40
	global_load_dwordx4 v[4:7], v2, s[2:3]
	v_readfirstlane_b32 s5, v9
	v_readfirstlane_b32 s4, v8
	s_mov_b64 s[6:7], exec
	s_waitcnt vmcnt(1)
	v_readfirstlane_b32 s8, v10
	v_readfirstlane_b32 s9, v11
	s_and_b64 s[8:9], s[8:9], s[4:5]
	s_mul_i32 s10, s9, 24
	s_mul_hi_u32 s11, s8, 24
	s_mul_i32 s12, s8, 24
	s_add_i32 s10, s11, s10
	v_mov_b32_e32 v3, s10
	s_waitcnt vmcnt(0)
	v_add_co_u32_e32 v8, vcc, s12, v4
	v_addc_co_u32_e32 v9, vcc, v5, v3, vcc
	s_and_saveexec_b64 s[10:11], s[0:1]
	s_cbranch_execz .LBB0_120
; %bb.119:
	v_mov_b32_e32 v11, s7
	v_mov_b32_e32 v10, s6
	;; [unrolled: 1-line block ×4, first 2 shown]
	global_store_dwordx4 v[8:9], v[10:13], off offset:8
.LBB0_120:
	s_or_b64 exec, exec, s[10:11]
	s_lshl_b64 s[6:7], s[8:9], 12
	v_mov_b32_e32 v3, s7
	v_add_co_u32_e32 v6, vcc, s6, v6
	v_addc_co_u32_e32 v7, vcc, v7, v3, vcc
	s_movk_i32 s6, 0xff1d
	v_and_or_b32 v0, v0, s6, 34
	s_mov_b32 s8, 0
	v_mov_b32_e32 v3, v2
	v_readfirstlane_b32 s6, v6
	v_readfirstlane_b32 s7, v7
	s_mov_b32 s9, s8
	s_mov_b32 s10, s8
	;; [unrolled: 1-line block ×3, first 2 shown]
	s_nop 1
	global_store_dwordx4 v29, v[0:3], s[6:7]
	s_nop 0
	v_mov_b32_e32 v0, s8
	v_mov_b32_e32 v1, s9
	;; [unrolled: 1-line block ×4, first 2 shown]
	global_store_dwordx4 v29, v[0:3], s[6:7] offset:16
	global_store_dwordx4 v29, v[0:3], s[6:7] offset:32
	;; [unrolled: 1-line block ×3, first 2 shown]
	s_and_saveexec_b64 s[6:7], s[0:1]
	s_cbranch_execz .LBB0_128
; %bb.121:
	v_mov_b32_e32 v6, 0
	global_load_dwordx2 v[12:13], v6, s[2:3] offset:32 glc
	global_load_dwordx2 v[0:1], v6, s[2:3] offset:40
	v_mov_b32_e32 v10, s4
	v_mov_b32_e32 v11, s5
	s_waitcnt vmcnt(0)
	v_readfirstlane_b32 s8, v0
	v_readfirstlane_b32 s9, v1
	s_and_b64 s[8:9], s[8:9], s[4:5]
	s_mul_i32 s9, s9, 24
	s_mul_hi_u32 s10, s8, 24
	s_mul_i32 s8, s8, 24
	s_add_i32 s9, s10, s9
	v_mov_b32_e32 v0, s9
	v_add_co_u32_e32 v4, vcc, s8, v4
	v_addc_co_u32_e32 v5, vcc, v5, v0, vcc
	global_store_dwordx2 v[4:5], v[12:13], off
	s_waitcnt vmcnt(0)
	global_atomic_cmpswap_x2 v[2:3], v6, v[10:13], s[2:3] offset:32 glc
	s_waitcnt vmcnt(0)
	v_cmp_ne_u64_e32 vcc, v[2:3], v[12:13]
	s_and_saveexec_b64 s[8:9], vcc
	s_cbranch_execz .LBB0_124
; %bb.122:
	s_mov_b64 s[10:11], 0
.LBB0_123:                              ; =>This Inner Loop Header: Depth=1
	s_sleep 1
	global_store_dwordx2 v[4:5], v[2:3], off
	v_mov_b32_e32 v0, s4
	v_mov_b32_e32 v1, s5
	s_waitcnt vmcnt(0)
	global_atomic_cmpswap_x2 v[0:1], v6, v[0:3], s[2:3] offset:32 glc
	s_waitcnt vmcnt(0)
	v_cmp_eq_u64_e32 vcc, v[0:1], v[2:3]
	v_mov_b32_e32 v3, v1
	s_or_b64 s[10:11], vcc, s[10:11]
	v_mov_b32_e32 v2, v0
	s_andn2_b64 exec, exec, s[10:11]
	s_cbranch_execnz .LBB0_123
.LBB0_124:
	s_or_b64 exec, exec, s[8:9]
	v_mov_b32_e32 v3, 0
	global_load_dwordx2 v[0:1], v3, s[2:3] offset:16
	s_mov_b64 s[8:9], exec
	v_mbcnt_lo_u32_b32 v2, s8, 0
	v_mbcnt_hi_u32_b32 v2, s9, v2
	v_cmp_eq_u32_e32 vcc, 0, v2
	s_and_saveexec_b64 s[10:11], vcc
	s_cbranch_execz .LBB0_126
; %bb.125:
	s_bcnt1_i32_b64 s8, s[8:9]
	v_mov_b32_e32 v2, s8
	s_waitcnt vmcnt(0)
	global_atomic_add_x2 v[0:1], v[2:3], off offset:8
.LBB0_126:
	s_or_b64 exec, exec, s[10:11]
	s_waitcnt vmcnt(0)
	global_load_dwordx2 v[2:3], v[0:1], off offset:16
	s_waitcnt vmcnt(0)
	v_cmp_eq_u64_e32 vcc, 0, v[2:3]
	s_cbranch_vccnz .LBB0_128
; %bb.127:
	global_load_dword v0, v[0:1], off offset:24
	v_mov_b32_e32 v1, 0
	s_waitcnt vmcnt(0)
	v_readfirstlane_b32 s8, v0
	s_and_b32 m0, s8, 0xffffff
	global_store_dwordx2 v[2:3], v[0:1], off
	s_sendmsg sendmsg(MSG_INTERRUPT)
.LBB0_128:
	s_or_b64 exec, exec, s[6:7]
	s_branch .LBB0_132
.LBB0_129:                              ;   in Loop: Header=BB0_132 Depth=1
	s_or_b64 exec, exec, s[6:7]
	v_readfirstlane_b32 s6, v0
	s_cmp_eq_u32 s6, 0
	s_cbranch_scc1 .LBB0_131
; %bb.130:                              ;   in Loop: Header=BB0_132 Depth=1
	s_sleep 1
	s_cbranch_execnz .LBB0_132
	s_branch .LBB0_134
.LBB0_131:
	s_branch .LBB0_134
.LBB0_132:                              ; =>This Inner Loop Header: Depth=1
	v_mov_b32_e32 v0, 1
	s_and_saveexec_b64 s[6:7], s[0:1]
	s_cbranch_execz .LBB0_129
; %bb.133:                              ;   in Loop: Header=BB0_132 Depth=1
	global_load_dword v0, v[8:9], off offset:20 glc
	s_waitcnt vmcnt(0)
	buffer_wbinvl1_vol
	v_and_b32_e32 v0, 1, v0
	s_branch .LBB0_129
.LBB0_134:
	s_and_saveexec_b64 s[6:7], s[0:1]
	s_cbranch_execz .LBB0_137
; %bb.135:
	v_mov_b32_e32 v6, 0
	global_load_dwordx2 v[0:1], v6, s[2:3] offset:40
	global_load_dwordx2 v[9:10], v6, s[2:3] offset:24 glc
	global_load_dwordx2 v[2:3], v6, s[2:3]
	s_waitcnt vmcnt(2)
	v_readfirstlane_b32 s6, v0
	v_readfirstlane_b32 s7, v1
	s_add_u32 s8, s6, 1
	s_addc_u32 s9, s7, 0
	s_add_u32 s0, s8, s4
	s_addc_u32 s1, s9, s5
	s_cmp_eq_u64 s[0:1], 0
	s_cselect_b32 s1, s9, s1
	s_cselect_b32 s0, s8, s0
	s_and_b64 s[4:5], s[0:1], s[6:7]
	s_mul_i32 s5, s5, 24
	s_mul_hi_u32 s6, s4, 24
	s_mul_i32 s4, s4, 24
	s_add_i32 s5, s6, s5
	v_mov_b32_e32 v0, s5
	s_waitcnt vmcnt(0)
	v_add_co_u32_e32 v4, vcc, s4, v2
	v_addc_co_u32_e32 v5, vcc, v3, v0, vcc
	v_mov_b32_e32 v7, s0
	global_store_dwordx2 v[4:5], v[9:10], off
	v_mov_b32_e32 v8, s1
	s_waitcnt vmcnt(0)
	global_atomic_cmpswap_x2 v[2:3], v6, v[7:10], s[2:3] offset:24 glc
	s_mov_b64 s[4:5], 0
	s_waitcnt vmcnt(0)
	v_cmp_ne_u64_e32 vcc, v[2:3], v[9:10]
	s_and_b64 exec, exec, vcc
	s_cbranch_execz .LBB0_137
.LBB0_136:                              ; =>This Inner Loop Header: Depth=1
	s_sleep 1
	global_store_dwordx2 v[4:5], v[2:3], off
	v_mov_b32_e32 v0, s0
	v_mov_b32_e32 v1, s1
	s_waitcnt vmcnt(0)
	global_atomic_cmpswap_x2 v[0:1], v6, v[0:3], s[2:3] offset:24 glc
	s_waitcnt vmcnt(0)
	v_cmp_eq_u64_e32 vcc, v[0:1], v[2:3]
	v_mov_b32_e32 v3, v1
	s_or_b64 s[4:5], vcc, s[4:5]
	v_mov_b32_e32 v2, v0
	s_andn2_b64 exec, exec, s[4:5]
	s_cbranch_execnz .LBB0_136
.LBB0_137:
	s_endpgm
	.section	.rodata,"a",@progbits
	.p2align	6, 0x0
	.amdhsa_kernel _Z18hello_world_kernelv
		.amdhsa_group_segment_fixed_size 0
		.amdhsa_private_segment_fixed_size 0
		.amdhsa_kernarg_size 256
		.amdhsa_user_sgpr_count 6
		.amdhsa_user_sgpr_private_segment_buffer 1
		.amdhsa_user_sgpr_dispatch_ptr 0
		.amdhsa_user_sgpr_queue_ptr 0
		.amdhsa_user_sgpr_kernarg_segment_ptr 1
		.amdhsa_user_sgpr_dispatch_id 0
		.amdhsa_user_sgpr_flat_scratch_init 0
		.amdhsa_user_sgpr_private_segment_size 0
		.amdhsa_uses_dynamic_stack 0
		.amdhsa_system_sgpr_private_segment_wavefront_offset 0
		.amdhsa_system_sgpr_workgroup_id_x 1
		.amdhsa_system_sgpr_workgroup_id_y 0
		.amdhsa_system_sgpr_workgroup_id_z 0
		.amdhsa_system_sgpr_workgroup_info 0
		.amdhsa_system_vgpr_workitem_id 0
		.amdhsa_next_free_vgpr 32
		.amdhsa_next_free_sgpr 19
		.amdhsa_reserve_vcc 1
		.amdhsa_reserve_flat_scratch 0
		.amdhsa_float_round_mode_32 0
		.amdhsa_float_round_mode_16_64 0
		.amdhsa_float_denorm_mode_32 3
		.amdhsa_float_denorm_mode_16_64 3
		.amdhsa_dx10_clamp 1
		.amdhsa_ieee_mode 1
		.amdhsa_fp16_overflow 0
		.amdhsa_exception_fp_ieee_invalid_op 0
		.amdhsa_exception_fp_denorm_src 0
		.amdhsa_exception_fp_ieee_div_zero 0
		.amdhsa_exception_fp_ieee_overflow 0
		.amdhsa_exception_fp_ieee_underflow 0
		.amdhsa_exception_fp_ieee_inexact 0
		.amdhsa_exception_int_div_zero 0
	.end_amdhsa_kernel
	.text
.Lfunc_end0:
	.size	_Z18hello_world_kernelv, .Lfunc_end0-_Z18hello_world_kernelv
                                        ; -- End function
	.set _Z18hello_world_kernelv.num_vgpr, 32
	.set _Z18hello_world_kernelv.num_agpr, 0
	.set _Z18hello_world_kernelv.numbered_sgpr, 19
	.set _Z18hello_world_kernelv.num_named_barrier, 0
	.set _Z18hello_world_kernelv.private_seg_size, 0
	.set _Z18hello_world_kernelv.uses_vcc, 1
	.set _Z18hello_world_kernelv.uses_flat_scratch, 0
	.set _Z18hello_world_kernelv.has_dyn_sized_stack, 0
	.set _Z18hello_world_kernelv.has_recursion, 0
	.set _Z18hello_world_kernelv.has_indirect_call, 0
	.section	.AMDGPU.csdata,"",@progbits
; Kernel info:
; codeLenInByte = 4624
; TotalNumSgprs: 23
; NumVgprs: 32
; ScratchSize: 0
; MemoryBound: 0
; FloatMode: 240
; IeeeMode: 1
; LDSByteSize: 0 bytes/workgroup (compile time only)
; SGPRBlocks: 2
; VGPRBlocks: 7
; NumSGPRsForWavesPerEU: 23
; NumVGPRsForWavesPerEU: 32
; Occupancy: 8
; WaveLimiterHint : 1
; COMPUTE_PGM_RSRC2:SCRATCH_EN: 0
; COMPUTE_PGM_RSRC2:USER_SGPR: 6
; COMPUTE_PGM_RSRC2:TRAP_HANDLER: 0
; COMPUTE_PGM_RSRC2:TGID_X_EN: 1
; COMPUTE_PGM_RSRC2:TGID_Y_EN: 0
; COMPUTE_PGM_RSRC2:TGID_Z_EN: 0
; COMPUTE_PGM_RSRC2:TIDIG_COMP_CNT: 0
	.section	.AMDGPU.gpr_maximums,"",@progbits
	.set amdgpu.max_num_vgpr, 0
	.set amdgpu.max_num_agpr, 0
	.set amdgpu.max_num_sgpr, 0
	.section	.AMDGPU.csdata,"",@progbits
	.type	.str,@object                    ; @.str
	.section	.rodata.str1.1,"aMS",@progbits,1
.str:
	.asciz	"Hello, World!\n"
	.size	.str, 15

	.type	__hip_cuid_4854636c1c3576d,@object ; @__hip_cuid_4854636c1c3576d
	.section	.bss,"aw",@nobits
	.globl	__hip_cuid_4854636c1c3576d
__hip_cuid_4854636c1c3576d:
	.byte	0                               ; 0x0
	.size	__hip_cuid_4854636c1c3576d, 1

	.ident	"AMD clang version 22.0.0git (https://github.com/RadeonOpenCompute/llvm-project roc-7.2.4 26084 f58b06dce1f9c15707c5f808fd002e18c2accf7e)"
	.section	".note.GNU-stack","",@progbits
	.addrsig
	.addrsig_sym __hip_cuid_4854636c1c3576d
	.amdgpu_metadata
---
amdhsa.kernels:
  - .args:
      - .offset:         0
        .size:           4
        .value_kind:     hidden_block_count_x
      - .offset:         4
        .size:           4
        .value_kind:     hidden_block_count_y
      - .offset:         8
        .size:           4
        .value_kind:     hidden_block_count_z
      - .offset:         12
        .size:           2
        .value_kind:     hidden_group_size_x
      - .offset:         14
        .size:           2
        .value_kind:     hidden_group_size_y
      - .offset:         16
        .size:           2
        .value_kind:     hidden_group_size_z
      - .offset:         18
        .size:           2
        .value_kind:     hidden_remainder_x
      - .offset:         20
        .size:           2
        .value_kind:     hidden_remainder_y
      - .offset:         22
        .size:           2
        .value_kind:     hidden_remainder_z
      - .offset:         40
        .size:           8
        .value_kind:     hidden_global_offset_x
      - .offset:         48
        .size:           8
        .value_kind:     hidden_global_offset_y
      - .offset:         56
        .size:           8
        .value_kind:     hidden_global_offset_z
      - .offset:         64
        .size:           2
        .value_kind:     hidden_grid_dims
      - .offset:         80
        .size:           8
        .value_kind:     hidden_hostcall_buffer
    .group_segment_fixed_size: 0
    .kernarg_segment_align: 8
    .kernarg_segment_size: 256
    .language:       OpenCL C
    .language_version:
      - 2
      - 0
    .max_flat_workgroup_size: 1024
    .name:           _Z18hello_world_kernelv
    .private_segment_fixed_size: 0
    .sgpr_count:     23
    .sgpr_spill_count: 0
    .symbol:         _Z18hello_world_kernelv.kd
    .uniform_work_group_size: 1
    .uses_dynamic_stack: false
    .vgpr_count:     32
    .vgpr_spill_count: 0
    .wavefront_size: 64
amdhsa.target:   amdgcn-amd-amdhsa--gfx906
amdhsa.version:
  - 1
  - 2
...

	.end_amdgpu_metadata
